;; amdgpu-corpus repo=ROCm/rocFFT kind=compiled arch=gfx1201 opt=O3
	.text
	.amdgcn_target "amdgcn-amd-amdhsa--gfx1201"
	.amdhsa_code_object_version 6
	.protected	fft_rtc_back_len330_factors_11_10_3_wgs_99_tpt_33_dp_ip_CI_unitstride_sbrr_C2R_dirReg ; -- Begin function fft_rtc_back_len330_factors_11_10_3_wgs_99_tpt_33_dp_ip_CI_unitstride_sbrr_C2R_dirReg
	.globl	fft_rtc_back_len330_factors_11_10_3_wgs_99_tpt_33_dp_ip_CI_unitstride_sbrr_C2R_dirReg
	.p2align	8
	.type	fft_rtc_back_len330_factors_11_10_3_wgs_99_tpt_33_dp_ip_CI_unitstride_sbrr_C2R_dirReg,@function
fft_rtc_back_len330_factors_11_10_3_wgs_99_tpt_33_dp_ip_CI_unitstride_sbrr_C2R_dirReg: ; @fft_rtc_back_len330_factors_11_10_3_wgs_99_tpt_33_dp_ip_CI_unitstride_sbrr_C2R_dirReg
; %bb.0:
	s_load_b128 s[4:7], s[0:1], 0x0
	v_mul_u32_u24_e32 v1, 0x7c2, v0
	s_clause 0x1
	s_load_b64 s[8:9], s[0:1], 0x50
	s_load_b64 s[10:11], s[0:1], 0x18
	v_mov_b32_e32 v5, 0
	v_lshrrev_b32_e32 v1, 16, v1
	s_delay_alu instid0(VALU_DEP_1) | instskip(SKIP_3) | instid1(VALU_DEP_1)
	v_mad_co_u64_u32 v[1:2], null, ttmp9, 3, v[1:2]
	v_mov_b32_e32 v3, 0
	v_mov_b32_e32 v4, 0
	;; [unrolled: 1-line block ×4, first 2 shown]
	s_wait_kmcnt 0x0
	v_cmp_lt_u64_e64 s2, s[6:7], 2
	v_mov_b32_e32 v9, v1
	s_delay_alu instid0(VALU_DEP_2)
	s_and_b32 vcc_lo, exec_lo, s2
	s_cbranch_vccnz .LBB0_8
; %bb.1:
	s_load_b64 s[2:3], s[0:1], 0x10
	v_dual_mov_b32 v3, 0 :: v_dual_mov_b32 v8, v2
	v_dual_mov_b32 v4, 0 :: v_dual_mov_b32 v7, v1
	s_add_nc_u64 s[12:13], s[10:11], 8
	s_mov_b64 s[14:15], 1
	s_wait_kmcnt 0x0
	s_add_nc_u64 s[16:17], s[2:3], 8
	s_mov_b32 s3, 0
.LBB0_2:                                ; =>This Inner Loop Header: Depth=1
	s_load_b64 s[18:19], s[16:17], 0x0
                                        ; implicit-def: $vgpr9_vgpr10
	s_mov_b32 s2, exec_lo
	s_wait_kmcnt 0x0
	v_or_b32_e32 v6, s19, v8
	s_delay_alu instid0(VALU_DEP_1)
	v_cmpx_ne_u64_e32 0, v[5:6]
	s_wait_alu 0xfffe
	s_xor_b32 s20, exec_lo, s2
	s_cbranch_execz .LBB0_4
; %bb.3:                                ;   in Loop: Header=BB0_2 Depth=1
	s_cvt_f32_u32 s2, s18
	s_cvt_f32_u32 s21, s19
	s_sub_nc_u64 s[24:25], 0, s[18:19]
	s_wait_alu 0xfffe
	s_delay_alu instid0(SALU_CYCLE_1) | instskip(SKIP_1) | instid1(SALU_CYCLE_2)
	s_fmamk_f32 s2, s21, 0x4f800000, s2
	s_wait_alu 0xfffe
	v_s_rcp_f32 s2, s2
	s_delay_alu instid0(TRANS32_DEP_1) | instskip(SKIP_1) | instid1(SALU_CYCLE_2)
	s_mul_f32 s2, s2, 0x5f7ffffc
	s_wait_alu 0xfffe
	s_mul_f32 s21, s2, 0x2f800000
	s_wait_alu 0xfffe
	s_delay_alu instid0(SALU_CYCLE_2) | instskip(SKIP_1) | instid1(SALU_CYCLE_2)
	s_trunc_f32 s21, s21
	s_wait_alu 0xfffe
	s_fmamk_f32 s2, s21, 0xcf800000, s2
	s_cvt_u32_f32 s23, s21
	s_wait_alu 0xfffe
	s_delay_alu instid0(SALU_CYCLE_1) | instskip(SKIP_1) | instid1(SALU_CYCLE_2)
	s_cvt_u32_f32 s22, s2
	s_wait_alu 0xfffe
	s_mul_u64 s[26:27], s[24:25], s[22:23]
	s_wait_alu 0xfffe
	s_mul_hi_u32 s29, s22, s27
	s_mul_i32 s28, s22, s27
	s_mul_hi_u32 s2, s22, s26
	s_mul_i32 s30, s23, s26
	s_wait_alu 0xfffe
	s_add_nc_u64 s[28:29], s[2:3], s[28:29]
	s_mul_hi_u32 s21, s23, s26
	s_mul_hi_u32 s31, s23, s27
	s_add_co_u32 s2, s28, s30
	s_wait_alu 0xfffe
	s_add_co_ci_u32 s2, s29, s21
	s_mul_i32 s26, s23, s27
	s_add_co_ci_u32 s27, s31, 0
	s_wait_alu 0xfffe
	s_add_nc_u64 s[26:27], s[2:3], s[26:27]
	s_wait_alu 0xfffe
	v_add_co_u32 v2, s2, s22, s26
	s_delay_alu instid0(VALU_DEP_1) | instskip(SKIP_1) | instid1(VALU_DEP_1)
	s_cmp_lg_u32 s2, 0
	s_add_co_ci_u32 s23, s23, s27
	v_readfirstlane_b32 s22, v2
	s_wait_alu 0xfffe
	s_delay_alu instid0(VALU_DEP_1)
	s_mul_u64 s[24:25], s[24:25], s[22:23]
	s_wait_alu 0xfffe
	s_mul_hi_u32 s27, s22, s25
	s_mul_i32 s26, s22, s25
	s_mul_hi_u32 s2, s22, s24
	s_mul_i32 s28, s23, s24
	s_wait_alu 0xfffe
	s_add_nc_u64 s[26:27], s[2:3], s[26:27]
	s_mul_hi_u32 s21, s23, s24
	s_mul_hi_u32 s22, s23, s25
	s_wait_alu 0xfffe
	s_add_co_u32 s2, s26, s28
	s_add_co_ci_u32 s2, s27, s21
	s_mul_i32 s24, s23, s25
	s_add_co_ci_u32 s25, s22, 0
	s_wait_alu 0xfffe
	s_add_nc_u64 s[24:25], s[2:3], s[24:25]
	s_wait_alu 0xfffe
	v_add_co_u32 v2, s2, v2, s24
	s_delay_alu instid0(VALU_DEP_1) | instskip(SKIP_1) | instid1(VALU_DEP_1)
	s_cmp_lg_u32 s2, 0
	s_add_co_ci_u32 s2, s23, s25
	v_mul_hi_u32 v6, v7, v2
	s_wait_alu 0xfffe
	v_mad_co_u64_u32 v[9:10], null, v7, s2, 0
	v_mad_co_u64_u32 v[11:12], null, v8, v2, 0
	;; [unrolled: 1-line block ×3, first 2 shown]
	s_delay_alu instid0(VALU_DEP_3) | instskip(SKIP_1) | instid1(VALU_DEP_4)
	v_add_co_u32 v2, vcc_lo, v6, v9
	s_wait_alu 0xfffd
	v_add_co_ci_u32_e32 v6, vcc_lo, 0, v10, vcc_lo
	s_delay_alu instid0(VALU_DEP_2) | instskip(SKIP_1) | instid1(VALU_DEP_2)
	v_add_co_u32 v2, vcc_lo, v2, v11
	s_wait_alu 0xfffd
	v_add_co_ci_u32_e32 v2, vcc_lo, v6, v12, vcc_lo
	s_wait_alu 0xfffd
	v_add_co_ci_u32_e32 v6, vcc_lo, 0, v14, vcc_lo
	s_delay_alu instid0(VALU_DEP_2) | instskip(SKIP_1) | instid1(VALU_DEP_2)
	v_add_co_u32 v2, vcc_lo, v2, v13
	s_wait_alu 0xfffd
	v_add_co_ci_u32_e32 v6, vcc_lo, 0, v6, vcc_lo
	s_delay_alu instid0(VALU_DEP_2) | instskip(SKIP_1) | instid1(VALU_DEP_3)
	v_mul_lo_u32 v11, s19, v2
	v_mad_co_u64_u32 v[9:10], null, s18, v2, 0
	v_mul_lo_u32 v12, s18, v6
	s_delay_alu instid0(VALU_DEP_2) | instskip(NEXT) | instid1(VALU_DEP_2)
	v_sub_co_u32 v9, vcc_lo, v7, v9
	v_add3_u32 v10, v10, v12, v11
	s_delay_alu instid0(VALU_DEP_1) | instskip(SKIP_1) | instid1(VALU_DEP_1)
	v_sub_nc_u32_e32 v11, v8, v10
	s_wait_alu 0xfffd
	v_subrev_co_ci_u32_e64 v11, s2, s19, v11, vcc_lo
	v_add_co_u32 v12, s2, v2, 2
	s_wait_alu 0xf1ff
	v_add_co_ci_u32_e64 v13, s2, 0, v6, s2
	v_sub_co_u32 v14, s2, v9, s18
	v_sub_co_ci_u32_e32 v10, vcc_lo, v8, v10, vcc_lo
	s_wait_alu 0xf1ff
	v_subrev_co_ci_u32_e64 v11, s2, 0, v11, s2
	s_delay_alu instid0(VALU_DEP_3) | instskip(NEXT) | instid1(VALU_DEP_3)
	v_cmp_le_u32_e32 vcc_lo, s18, v14
	v_cmp_eq_u32_e64 s2, s19, v10
	s_wait_alu 0xfffd
	v_cndmask_b32_e64 v14, 0, -1, vcc_lo
	v_cmp_le_u32_e32 vcc_lo, s19, v11
	s_wait_alu 0xfffd
	v_cndmask_b32_e64 v15, 0, -1, vcc_lo
	v_cmp_le_u32_e32 vcc_lo, s18, v9
	;; [unrolled: 3-line block ×3, first 2 shown]
	s_wait_alu 0xfffd
	v_cndmask_b32_e64 v16, 0, -1, vcc_lo
	v_cmp_eq_u32_e32 vcc_lo, s19, v11
	s_wait_alu 0xf1ff
	s_delay_alu instid0(VALU_DEP_2)
	v_cndmask_b32_e64 v9, v16, v9, s2
	s_wait_alu 0xfffd
	v_cndmask_b32_e32 v11, v15, v14, vcc_lo
	v_add_co_u32 v14, vcc_lo, v2, 1
	s_wait_alu 0xfffd
	v_add_co_ci_u32_e32 v15, vcc_lo, 0, v6, vcc_lo
	s_delay_alu instid0(VALU_DEP_3) | instskip(SKIP_1) | instid1(VALU_DEP_2)
	v_cmp_ne_u32_e32 vcc_lo, 0, v11
	s_wait_alu 0xfffd
	v_dual_cndmask_b32 v10, v15, v13 :: v_dual_cndmask_b32 v11, v14, v12
	v_cmp_ne_u32_e32 vcc_lo, 0, v9
	s_wait_alu 0xfffd
	s_delay_alu instid0(VALU_DEP_2) | instskip(NEXT) | instid1(VALU_DEP_3)
	v_cndmask_b32_e32 v10, v6, v10, vcc_lo
	v_cndmask_b32_e32 v9, v2, v11, vcc_lo
.LBB0_4:                                ;   in Loop: Header=BB0_2 Depth=1
	s_wait_alu 0xfffe
	s_and_not1_saveexec_b32 s2, s20
	s_cbranch_execz .LBB0_6
; %bb.5:                                ;   in Loop: Header=BB0_2 Depth=1
	v_cvt_f32_u32_e32 v2, s18
	s_sub_co_i32 s20, 0, s18
	s_delay_alu instid0(VALU_DEP_1) | instskip(NEXT) | instid1(TRANS32_DEP_1)
	v_rcp_iflag_f32_e32 v2, v2
	v_mul_f32_e32 v2, 0x4f7ffffe, v2
	s_delay_alu instid0(VALU_DEP_1) | instskip(SKIP_1) | instid1(VALU_DEP_1)
	v_cvt_u32_f32_e32 v2, v2
	s_wait_alu 0xfffe
	v_mul_lo_u32 v6, s20, v2
	s_delay_alu instid0(VALU_DEP_1) | instskip(NEXT) | instid1(VALU_DEP_1)
	v_mul_hi_u32 v6, v2, v6
	v_add_nc_u32_e32 v2, v2, v6
	s_delay_alu instid0(VALU_DEP_1) | instskip(NEXT) | instid1(VALU_DEP_1)
	v_mul_hi_u32 v2, v7, v2
	v_mul_lo_u32 v6, v2, s18
	v_add_nc_u32_e32 v9, 1, v2
	s_delay_alu instid0(VALU_DEP_2) | instskip(NEXT) | instid1(VALU_DEP_1)
	v_sub_nc_u32_e32 v6, v7, v6
	v_subrev_nc_u32_e32 v10, s18, v6
	v_cmp_le_u32_e32 vcc_lo, s18, v6
	s_wait_alu 0xfffd
	s_delay_alu instid0(VALU_DEP_2) | instskip(SKIP_2) | instid1(VALU_DEP_3)
	v_cndmask_b32_e32 v6, v6, v10, vcc_lo
	v_mov_b32_e32 v10, v5
	v_cndmask_b32_e32 v2, v2, v9, vcc_lo
	v_cmp_le_u32_e32 vcc_lo, s18, v6
	s_delay_alu instid0(VALU_DEP_2) | instskip(SKIP_1) | instid1(VALU_DEP_1)
	v_add_nc_u32_e32 v9, 1, v2
	s_wait_alu 0xfffd
	v_cndmask_b32_e32 v9, v2, v9, vcc_lo
.LBB0_6:                                ;   in Loop: Header=BB0_2 Depth=1
	s_wait_alu 0xfffe
	s_or_b32 exec_lo, exec_lo, s2
	s_load_b64 s[20:21], s[12:13], 0x0
	v_mul_lo_u32 v2, v10, s18
	v_mul_lo_u32 v6, v9, s19
	v_mad_co_u64_u32 v[11:12], null, v9, s18, 0
	s_add_nc_u64 s[14:15], s[14:15], 1
	s_add_nc_u64 s[12:13], s[12:13], 8
	s_wait_alu 0xfffe
	v_cmp_ge_u64_e64 s2, s[14:15], s[6:7]
	s_add_nc_u64 s[16:17], s[16:17], 8
	s_delay_alu instid0(VALU_DEP_2) | instskip(NEXT) | instid1(VALU_DEP_3)
	v_add3_u32 v2, v12, v6, v2
	v_sub_co_u32 v6, vcc_lo, v7, v11
	s_wait_alu 0xfffd
	s_delay_alu instid0(VALU_DEP_2) | instskip(SKIP_3) | instid1(VALU_DEP_2)
	v_sub_co_ci_u32_e32 v2, vcc_lo, v8, v2, vcc_lo
	s_and_b32 vcc_lo, exec_lo, s2
	s_wait_kmcnt 0x0
	v_mul_lo_u32 v7, s21, v6
	v_mul_lo_u32 v2, s20, v2
	v_mad_co_u64_u32 v[3:4], null, s20, v6, v[3:4]
	s_delay_alu instid0(VALU_DEP_1)
	v_add3_u32 v4, v7, v4, v2
	s_wait_alu 0xfffe
	s_cbranch_vccnz .LBB0_8
; %bb.7:                                ;   in Loop: Header=BB0_2 Depth=1
	v_dual_mov_b32 v7, v9 :: v_dual_mov_b32 v8, v10
	s_branch .LBB0_2
.LBB0_8:
	s_lshl_b64 s[2:3], s[6:7], 3
	v_mul_hi_u32 v2, 0xaaaaaaab, v1
	s_wait_alu 0xfffe
	s_add_nc_u64 s[2:3], s[10:11], s[2:3]
	s_load_b64 s[0:1], s[0:1], 0x20
	s_load_b64 s[2:3], s[2:3], 0x0
	v_mul_hi_u32 v5, 0x7c1f07d, v0
	s_delay_alu instid0(VALU_DEP_2) | instskip(NEXT) | instid1(VALU_DEP_1)
	v_lshrrev_b32_e32 v2, 1, v2
	v_lshl_add_u32 v6, v2, 1, v2
	s_delay_alu instid0(VALU_DEP_1)
	v_sub_nc_u32_e32 v1, v1, v6
	s_wait_kmcnt 0x0
	v_cmp_gt_u64_e32 vcc_lo, s[0:1], v[9:10]
	v_mul_lo_u32 v7, s2, v10
	v_mul_lo_u32 v8, s3, v9
	v_mad_co_u64_u32 v[2:3], null, s2, v9, v[3:4]
	v_mul_u32_u24_e32 v4, 33, v5
	v_mul_u32_u24_e32 v11, 0x14b, v1
	s_delay_alu instid0(VALU_DEP_2) | instskip(NEXT) | instid1(VALU_DEP_4)
	v_sub_nc_u32_e32 v48, v0, v4
	v_add3_u32 v3, v8, v3, v7
	s_delay_alu instid0(VALU_DEP_3) | instskip(NEXT) | instid1(VALU_DEP_2)
	v_lshlrev_b32_e32 v113, 4, v11
	v_lshlrev_b64_e32 v[50:51], 4, v[2:3]
	s_and_saveexec_b32 s1, vcc_lo
	s_cbranch_execz .LBB0_12
; %bb.9:
	v_mov_b32_e32 v49, 0
	s_delay_alu instid0(VALU_DEP_2) | instskip(SKIP_2) | instid1(VALU_DEP_3)
	v_add_co_u32 v0, s0, s8, v50
	s_wait_alu 0xf1ff
	v_add_co_ci_u32_e64 v1, s0, s9, v51, s0
	v_lshlrev_b64_e32 v[2:3], 4, v[48:49]
	s_mov_b32 s2, exec_lo
	s_delay_alu instid0(VALU_DEP_1) | instskip(SKIP_2) | instid1(VALU_DEP_3)
	v_add_co_u32 v40, s0, v0, v2
	v_lshlrev_b32_e32 v2, 4, v48
	s_wait_alu 0xf1ff
	v_add_co_ci_u32_e64 v41, s0, v1, v3, s0
	s_clause 0x9
	global_load_b128 v[3:6], v[40:41], off
	global_load_b128 v[7:10], v[40:41], off offset:528
	global_load_b128 v[12:15], v[40:41], off offset:1056
	global_load_b128 v[16:19], v[40:41], off offset:1584
	global_load_b128 v[20:23], v[40:41], off offset:2112
	global_load_b128 v[24:27], v[40:41], off offset:2640
	global_load_b128 v[28:31], v[40:41], off offset:3168
	global_load_b128 v[32:35], v[40:41], off offset:3696
	global_load_b128 v[36:39], v[40:41], off offset:4224
	global_load_b128 v[40:43], v[40:41], off offset:4752
	v_add3_u32 v2, 0, v113, v2
	s_wait_loadcnt 0x9
	ds_store_b128 v2, v[3:6]
	s_wait_loadcnt 0x8
	ds_store_b128 v2, v[7:10] offset:528
	s_wait_loadcnt 0x7
	ds_store_b128 v2, v[12:15] offset:1056
	s_wait_loadcnt 0x6
	ds_store_b128 v2, v[16:19] offset:1584
	s_wait_loadcnt 0x5
	ds_store_b128 v2, v[20:23] offset:2112
	s_wait_loadcnt 0x4
	ds_store_b128 v2, v[24:27] offset:2640
	s_wait_loadcnt 0x3
	ds_store_b128 v2, v[28:31] offset:3168
	s_wait_loadcnt 0x2
	ds_store_b128 v2, v[32:35] offset:3696
	s_wait_loadcnt 0x1
	ds_store_b128 v2, v[36:39] offset:4224
	s_wait_loadcnt 0x0
	ds_store_b128 v2, v[40:43] offset:4752
	v_cmpx_eq_u32_e32 32, v48
	s_cbranch_execz .LBB0_11
; %bb.10:
	global_load_b128 v[3:6], v[0:1], off offset:5280
	v_mov_b32_e32 v48, 32
	s_wait_loadcnt 0x0
	ds_store_b128 v2, v[3:6] offset:4768
.LBB0_11:
	s_wait_alu 0xfffe
	s_or_b32 exec_lo, exec_lo, s2
.LBB0_12:
	s_wait_alu 0xfffe
	s_or_b32 exec_lo, exec_lo, s1
	v_lshl_add_u32 v112, v11, 4, 0
	v_lshlrev_b32_e32 v0, 4, v48
	global_wb scope:SCOPE_SE
	s_wait_dscnt 0x0
	s_barrier_signal -1
	s_barrier_wait -1
	global_inv scope:SCOPE_SE
	v_add_nc_u32_e32 v114, v112, v0
	v_sub_nc_u32_e32 v10, v112, v0
	s_mov_b32 s1, exec_lo
                                        ; implicit-def: $vgpr4_vgpr5
	ds_load_b64 v[6:7], v114
	ds_load_b64 v[8:9], v10 offset:5280
	s_wait_dscnt 0x0
	v_add_f64_e32 v[0:1], v[6:7], v[8:9]
	v_add_f64_e64 v[2:3], v[6:7], -v[8:9]
	v_cmpx_ne_u32_e32 0, v48
	s_wait_alu 0xfffe
	s_xor_b32 s1, exec_lo, s1
	s_cbranch_execz .LBB0_14
; %bb.13:
	v_mov_b32_e32 v49, 0
	v_add_f64_e32 v[14:15], v[6:7], v[8:9]
	v_add_f64_e64 v[16:17], v[6:7], -v[8:9]
	s_delay_alu instid0(VALU_DEP_3) | instskip(NEXT) | instid1(VALU_DEP_1)
	v_lshlrev_b64_e32 v[0:1], 4, v[48:49]
	v_add_co_u32 v0, s0, s4, v0
	s_wait_alu 0xf1ff
	s_delay_alu instid0(VALU_DEP_2)
	v_add_co_ci_u32_e64 v1, s0, s5, v1, s0
	global_load_b128 v[2:5], v[0:1], off offset:5104
	ds_load_b64 v[0:1], v10 offset:5288
	ds_load_b64 v[12:13], v114 offset:8
	s_wait_dscnt 0x0
	v_add_f64_e32 v[6:7], v[0:1], v[12:13]
	v_add_f64_e64 v[0:1], v[12:13], -v[0:1]
	s_wait_loadcnt 0x0
	v_fma_f64 v[8:9], v[16:17], v[4:5], v[14:15]
	v_fma_f64 v[12:13], -v[16:17], v[4:5], v[14:15]
	s_delay_alu instid0(VALU_DEP_3) | instskip(SKIP_1) | instid1(VALU_DEP_4)
	v_fma_f64 v[14:15], v[6:7], v[4:5], -v[0:1]
	v_fma_f64 v[4:5], v[6:7], v[4:5], v[0:1]
	v_fma_f64 v[0:1], -v[6:7], v[2:3], v[8:9]
	s_delay_alu instid0(VALU_DEP_4) | instskip(NEXT) | instid1(VALU_DEP_4)
	v_fma_f64 v[6:7], v[6:7], v[2:3], v[12:13]
	v_fma_f64 v[8:9], v[16:17], v[2:3], v[14:15]
	s_delay_alu instid0(VALU_DEP_4)
	v_fma_f64 v[2:3], v[16:17], v[2:3], v[4:5]
	v_dual_mov_b32 v4, v48 :: v_dual_mov_b32 v5, v49
	ds_store_b128 v10, v[6:9] offset:5280
.LBB0_14:
	s_wait_alu 0xfffe
	s_and_not1_saveexec_b32 s0, s1
	s_cbranch_execz .LBB0_16
; %bb.15:
	ds_load_b128 v[4:7], v112 offset:2640
	s_wait_dscnt 0x0
	v_add_f64_e32 v[12:13], v[4:5], v[4:5]
	v_mul_f64_e32 v[14:15], -2.0, v[6:7]
	v_mov_b32_e32 v4, 0
	v_mov_b32_e32 v5, 0
	ds_store_b128 v112, v[12:15] offset:2640
.LBB0_16:
	s_wait_alu 0xfffe
	s_or_b32 exec_lo, exec_lo, s0
	v_lshlrev_b64_e32 v[4:5], 4, v[4:5]
	s_add_nc_u64 s[0:1], s[4:5], 0x13f0
	v_lshl_add_u32 v115, v48, 4, 0
	s_mov_b32 s2, 0x8764f0ba
	s_mov_b32 s16, 0xf8bb580b
	;; [unrolled: 1-line block ×3, first 2 shown]
	s_wait_alu 0xfffe
	v_add_co_u32 v24, s0, s0, v4
	s_wait_alu 0xf1ff
	v_add_co_ci_u32_e64 v25, s0, s1, v5, s0
	v_lshl_add_u32 v49, v11, 4, v115
	s_mov_b32 s17, 0xbfe14ced
	s_mov_b32 s6, 0xd9c712b6
	s_clause 0x1
	global_load_b128 v[4:7], v[24:25], off offset:528
	global_load_b128 v[12:15], v[24:25], off offset:1056
	ds_store_b128 v114, v[0:3]
	ds_load_b128 v[0:3], v114 offset:528
	ds_load_b128 v[16:19], v10 offset:4752
	global_load_b128 v[20:23], v[24:25], off offset:1584
	s_mov_b32 s24, 0x8eee2c13
	s_mov_b32 s7, 0x3fda9628
	;; [unrolled: 1-line block ×15, first 2 shown]
	s_mov_b32 s28, exec_lo
	s_wait_dscnt 0x0
	v_add_f64_e32 v[8:9], v[0:1], v[16:17]
	v_add_f64_e32 v[26:27], v[18:19], v[2:3]
	v_add_f64_e64 v[16:17], v[0:1], -v[16:17]
	v_add_f64_e64 v[0:1], v[2:3], -v[18:19]
	s_wait_loadcnt 0x2
	s_delay_alu instid0(VALU_DEP_2) | instskip(NEXT) | instid1(VALU_DEP_2)
	v_fma_f64 v[2:3], v[16:17], v[6:7], v[8:9]
	v_fma_f64 v[18:19], v[26:27], v[6:7], v[0:1]
	v_fma_f64 v[8:9], -v[16:17], v[6:7], v[8:9]
	v_fma_f64 v[28:29], v[26:27], v[6:7], -v[0:1]
	s_delay_alu instid0(VALU_DEP_4) | instskip(NEXT) | instid1(VALU_DEP_4)
	v_fma_f64 v[0:1], -v[26:27], v[4:5], v[2:3]
	v_fma_f64 v[2:3], v[16:17], v[4:5], v[18:19]
	s_delay_alu instid0(VALU_DEP_4) | instskip(NEXT) | instid1(VALU_DEP_4)
	v_fma_f64 v[6:7], v[26:27], v[4:5], v[8:9]
	v_fma_f64 v[8:9], v[16:17], v[4:5], v[28:29]
	ds_store_b128 v114, v[0:3] offset:528
	ds_store_b128 v10, v[6:9] offset:4752
	ds_load_b128 v[0:3], v114 offset:1056
	ds_load_b128 v[4:7], v10 offset:4224
	global_load_b128 v[16:19], v[24:25], off offset:2112
	s_wait_dscnt 0x0
	v_add_f64_e32 v[8:9], v[0:1], v[4:5]
	v_add_f64_e32 v[24:25], v[6:7], v[2:3]
	v_add_f64_e64 v[26:27], v[0:1], -v[4:5]
	v_add_f64_e64 v[0:1], v[2:3], -v[6:7]
	s_wait_loadcnt 0x2
	s_delay_alu instid0(VALU_DEP_2) | instskip(NEXT) | instid1(VALU_DEP_2)
	v_fma_f64 v[2:3], v[26:27], v[14:15], v[8:9]
	v_fma_f64 v[4:5], v[24:25], v[14:15], v[0:1]
	v_fma_f64 v[6:7], -v[26:27], v[14:15], v[8:9]
	v_fma_f64 v[8:9], v[24:25], v[14:15], -v[0:1]
	s_delay_alu instid0(VALU_DEP_4) | instskip(NEXT) | instid1(VALU_DEP_4)
	v_fma_f64 v[0:1], -v[24:25], v[12:13], v[2:3]
	v_fma_f64 v[2:3], v[26:27], v[12:13], v[4:5]
	s_delay_alu instid0(VALU_DEP_4) | instskip(NEXT) | instid1(VALU_DEP_4)
	v_fma_f64 v[4:5], v[24:25], v[12:13], v[6:7]
	v_fma_f64 v[6:7], v[26:27], v[12:13], v[8:9]
	ds_store_b128 v114, v[0:3] offset:1056
	ds_store_b128 v10, v[4:7] offset:4224
	ds_load_b128 v[0:3], v114 offset:1584
	ds_load_b128 v[4:7], v10 offset:3696
	s_wait_dscnt 0x0
	v_add_f64_e32 v[8:9], v[0:1], v[4:5]
	v_add_f64_e32 v[12:13], v[6:7], v[2:3]
	v_add_f64_e64 v[14:15], v[0:1], -v[4:5]
	v_add_f64_e64 v[0:1], v[2:3], -v[6:7]
	s_wait_loadcnt 0x1
	s_delay_alu instid0(VALU_DEP_2) | instskip(NEXT) | instid1(VALU_DEP_2)
	v_fma_f64 v[2:3], v[14:15], v[22:23], v[8:9]
	v_fma_f64 v[4:5], v[12:13], v[22:23], v[0:1]
	v_fma_f64 v[6:7], -v[14:15], v[22:23], v[8:9]
	v_fma_f64 v[8:9], v[12:13], v[22:23], -v[0:1]
	s_delay_alu instid0(VALU_DEP_4) | instskip(NEXT) | instid1(VALU_DEP_4)
	v_fma_f64 v[0:1], -v[12:13], v[20:21], v[2:3]
	v_fma_f64 v[2:3], v[14:15], v[20:21], v[4:5]
	s_delay_alu instid0(VALU_DEP_4) | instskip(NEXT) | instid1(VALU_DEP_4)
	v_fma_f64 v[4:5], v[12:13], v[20:21], v[6:7]
	v_fma_f64 v[6:7], v[14:15], v[20:21], v[8:9]
	ds_store_b128 v114, v[0:3] offset:1584
	ds_store_b128 v10, v[4:7] offset:3696
	ds_load_b128 v[0:3], v114 offset:2112
	ds_load_b128 v[4:7], v10 offset:3168
	s_wait_dscnt 0x0
	v_add_f64_e32 v[8:9], v[0:1], v[4:5]
	v_add_f64_e32 v[12:13], v[6:7], v[2:3]
	v_add_f64_e64 v[14:15], v[0:1], -v[4:5]
	v_add_f64_e64 v[0:1], v[2:3], -v[6:7]
	s_wait_loadcnt 0x0
	s_delay_alu instid0(VALU_DEP_2) | instskip(NEXT) | instid1(VALU_DEP_2)
	v_fma_f64 v[2:3], v[14:15], v[18:19], v[8:9]
	v_fma_f64 v[4:5], v[12:13], v[18:19], v[0:1]
	v_fma_f64 v[6:7], -v[14:15], v[18:19], v[8:9]
	v_fma_f64 v[8:9], v[12:13], v[18:19], -v[0:1]
	s_delay_alu instid0(VALU_DEP_4) | instskip(NEXT) | instid1(VALU_DEP_4)
	v_fma_f64 v[0:1], -v[12:13], v[16:17], v[2:3]
	v_fma_f64 v[2:3], v[14:15], v[16:17], v[4:5]
	s_delay_alu instid0(VALU_DEP_4) | instskip(NEXT) | instid1(VALU_DEP_4)
	v_fma_f64 v[4:5], v[12:13], v[16:17], v[6:7]
	v_fma_f64 v[6:7], v[14:15], v[16:17], v[8:9]
	ds_store_b128 v114, v[0:3] offset:2112
	ds_store_b128 v10, v[4:7] offset:3168
	global_wb scope:SCOPE_SE
	s_wait_dscnt 0x0
	s_barrier_signal -1
	s_barrier_wait -1
	global_inv scope:SCOPE_SE
	global_wb scope:SCOPE_SE
	s_barrier_signal -1
	s_barrier_wait -1
	global_inv scope:SCOPE_SE
	ds_load_b128 v[4:7], v49 offset:4800
	ds_load_b128 v[36:39], v49 offset:480
	ds_load_b128 v[16:19], v114
	ds_load_b128 v[8:11], v49 offset:4320
	ds_load_b128 v[44:47], v49 offset:960
	ds_load_b128 v[40:43], v49 offset:1440
	ds_load_b128 v[12:15], v49 offset:3840
	ds_load_b128 v[20:23], v49 offset:3360
	ds_load_b128 v[32:35], v49 offset:1920
	ds_load_b128 v[24:27], v49 offset:2400
	ds_load_b128 v[28:31], v49 offset:2880
	global_wb scope:SCOPE_SE
	s_wait_dscnt 0x0
	s_barrier_signal -1
	s_barrier_wait -1
	global_inv scope:SCOPE_SE
	v_add_f64_e64 v[108:109], v[38:39], -v[6:7]
	v_add_f64_e32 v[72:73], v[38:39], v[6:7]
	v_add_f64_e32 v[70:71], v[36:37], v[4:5]
	v_add_f64_e64 v[110:111], v[36:37], -v[4:5]
	v_add_f64_e64 v[86:87], v[46:47], -v[10:11]
	v_add_f64_e32 v[60:61], v[46:47], v[10:11]
	v_add_f64_e32 v[58:59], v[44:45], v[8:9]
	v_add_f64_e64 v[96:97], v[44:45], -v[8:9]
	;; [unrolled: 4-line block ×4, first 2 shown]
	v_add_f64_e64 v[94:95], v[26:27], -v[30:31]
	v_add_f64_e32 v[54:55], v[26:27], v[30:31]
	v_add_f64_e64 v[98:99], v[24:25], -v[28:29]
	v_mul_f64_e32 v[74:75], s[16:17], v[108:109]
	v_mul_f64_e32 v[78:79], s[2:3], v[72:73]
	s_wait_alu 0xfffe
	v_mul_f64_e32 v[76:77], s[24:25], v[86:87]
	v_mul_f64_e32 v[80:81], s[6:7], v[60:61]
	;; [unrolled: 1-line block ×7, first 2 shown]
	v_fma_f64 v[0:1], v[70:71], s[2:3], -v[74:75]
	v_fma_f64 v[2:3], v[110:111], s[16:17], v[78:79]
	v_fma_f64 v[56:57], v[58:59], s[6:7], -v[76:77]
	v_fma_f64 v[66:67], v[96:97], s[24:25], v[80:81]
	;; [unrolled: 2-line block ×4, first 2 shown]
	v_add_f64_e32 v[0:1], v[16:17], v[0:1]
	v_add_f64_e32 v[2:3], v[18:19], v[2:3]
	s_delay_alu instid0(VALU_DEP_2) | instskip(NEXT) | instid1(VALU_DEP_2)
	v_add_f64_e32 v[0:1], v[56:57], v[0:1]
	v_add_f64_e32 v[2:3], v[66:67], v[2:3]
	;; [unrolled: 1-line block ×3, first 2 shown]
	v_mul_f64_e32 v[66:67], s[22:23], v[94:95]
	s_delay_alu instid0(VALU_DEP_4) | instskip(NEXT) | instid1(VALU_DEP_4)
	v_add_f64_e32 v[0:1], v[116:117], v[0:1]
	v_add_f64_e32 v[2:3], v[118:119], v[2:3]
	v_fma_f64 v[118:119], v[98:99], s[22:23], v[68:69]
	s_delay_alu instid0(VALU_DEP_4) | instskip(NEXT) | instid1(VALU_DEP_4)
	v_fma_f64 v[116:117], v[56:57], s[14:15], -v[66:67]
	v_add_f64_e32 v[0:1], v[120:121], v[0:1]
	s_delay_alu instid0(VALU_DEP_4) | instskip(NEXT) | instid1(VALU_DEP_2)
	v_add_f64_e32 v[2:3], v[122:123], v[2:3]
	v_add_f64_e32 v[0:1], v[116:117], v[0:1]
	s_delay_alu instid0(VALU_DEP_2)
	v_add_f64_e32 v[2:3], v[118:119], v[2:3]
	v_cmpx_gt_u32_e32 30, v48
	s_cbranch_execz .LBB0_18
; %bb.17:
	v_add_f64_e32 v[38:39], v[18:19], v[38:39]
	v_add_f64_e32 v[36:37], v[16:17], v[36:37]
	v_mul_f64_e32 v[116:117], s[20:21], v[110:111]
	v_mul_f64_e32 v[118:119], s[20:21], v[108:109]
	v_mul_f64_e32 v[120:121], s[18:19], v[108:109]
	v_mul_f64_e32 v[122:123], s[2:3], v[70:71]
	v_mul_f64_e32 v[124:125], s[22:23], v[98:99]
	s_mov_b32 s1, 0x3fe14ced
	s_mov_b32 s0, s16
	v_mul_f64_e32 v[138:139], s[22:23], v[106:107]
	s_mov_b32 s27, 0x3fefac9e
	s_mov_b32 s26, s18
	v_mul_f64_e32 v[140:141], s[22:23], v[90:91]
	v_mul_f64_e32 v[128:129], s[18:19], v[104:105]
	;; [unrolled: 1-line block ×9, first 2 shown]
	s_wait_alu 0xfffe
	v_mul_f64_e32 v[168:169], s[0:1], v[86:87]
	v_mul_f64_e32 v[170:171], s[26:27], v[86:87]
	;; [unrolled: 1-line block ×13, first 2 shown]
	v_add_f64_e32 v[38:39], v[38:39], v[46:47]
	v_add_f64_e32 v[36:37], v[36:37], v[44:45]
	v_mul_f64_e32 v[44:45], s[22:23], v[110:111]
	v_mul_f64_e32 v[46:47], s[22:23], v[108:109]
	;; [unrolled: 1-line block ×3, first 2 shown]
	s_mov_b32 s23, 0x3fd207e7
	v_fma_f64 v[182:183], v[72:73], s[12:13], v[116:117]
	v_fma_f64 v[116:117], v[72:73], s[12:13], -v[116:117]
	s_wait_alu 0xfffe
	v_mul_f64_e32 v[86:87], s[22:23], v[86:87]
	v_add_f64_e32 v[74:75], v[122:123], v[74:75]
	v_add_f64_e64 v[68:69], v[68:69], -v[124:125]
	v_add_f64_e64 v[102:103], v[102:103], -v[128:129]
	;; [unrolled: 1-line block ×3, first 2 shown]
	v_add_f64_e32 v[100:101], v[134:135], v[100:101]
	v_add_f64_e32 v[76:77], v[136:137], v[76:77]
	v_fma_f64 v[122:123], v[60:61], s[12:13], -v[142:143]
	v_fma_f64 v[128:129], v[52:53], s[12:13], v[146:147]
	v_fma_f64 v[130:131], v[52:53], s[12:13], -v[146:147]
	v_fma_f64 v[134:135], v[52:53], s[2:3], v[148:149]
	;; [unrolled: 2-line block ×3, first 2 shown]
	v_add_f64_e32 v[66:67], v[158:159], v[66:67]
	v_add_f64_e32 v[38:39], v[38:39], v[42:43]
	;; [unrolled: 1-line block ×3, first 2 shown]
	v_mul_f64_e32 v[40:41], s[18:19], v[110:111]
	v_mul_f64_e32 v[42:43], s[24:25], v[110:111]
	;; [unrolled: 1-line block ×3, first 2 shown]
	v_fma_f64 v[178:179], v[72:73], s[14:15], v[44:45]
	v_fma_f64 v[180:181], v[70:71], s[14:15], -v[46:47]
	v_fma_f64 v[44:45], v[72:73], s[14:15], -v[44:45]
	v_fma_f64 v[46:47], v[70:71], s[14:15], v[46:47]
	v_fma_f64 v[188:189], v[70:71], s[6:7], -v[108:109]
	s_mov_b32 s25, 0x3fed1bb4
	v_fma_f64 v[190:191], v[58:59], s[14:15], -v[86:87]
	s_wait_alu 0xfffe
	v_mul_f64_e32 v[172:173], s[24:25], v[104:105]
	v_mul_f64_e32 v[104:105], s[22:23], v[104:105]
	;; [unrolled: 1-line block ×4, first 2 shown]
	v_add_f64_e32 v[116:117], v[18:19], v[116:117]
	v_mul_f64_e32 v[176:177], s[24:25], v[106:107]
	v_mul_f64_e32 v[106:107], s[26:27], v[106:107]
	v_add_f64_e32 v[34:35], v[38:39], v[34:35]
	v_add_f64_e32 v[32:33], v[36:37], v[32:33]
	v_mul_f64_e32 v[36:37], s[0:1], v[96:97]
	v_mul_f64_e32 v[38:39], s[26:27], v[96:97]
	v_mul_f64_e32 v[96:97], s[22:23], v[96:97]
	v_fma_f64 v[184:185], v[72:73], s[10:11], v[40:41]
	v_fma_f64 v[40:41], v[72:73], s[10:11], -v[40:41]
	v_fma_f64 v[186:187], v[72:73], s[6:7], v[42:43]
	v_fma_f64 v[42:43], v[72:73], s[6:7], -v[42:43]
	v_fma_f64 v[72:73], v[70:71], s[12:13], -v[118:119]
	v_fma_f64 v[118:119], v[70:71], s[12:13], v[118:119]
	v_add_f64_e64 v[78:79], v[78:79], -v[110:111]
	v_fma_f64 v[110:111], v[70:71], s[10:11], -v[120:121]
	v_fma_f64 v[120:121], v[70:71], s[10:11], v[120:121]
	v_fma_f64 v[70:71], v[70:71], s[6:7], v[108:109]
	v_fma_f64 v[108:109], v[60:61], s[12:13], v[142:143]
	v_add_f64_e32 v[180:181], v[16:17], v[180:181]
	v_add_f64_e32 v[44:45], v[18:19], v[44:45]
	;; [unrolled: 1-line block ×5, first 2 shown]
	v_fma_f64 v[32:33], v[58:59], s[12:13], -v[144:145]
	v_fma_f64 v[34:35], v[58:59], s[12:13], v[144:145]
	v_fma_f64 v[142:143], v[60:61], s[2:3], v[36:37]
	v_fma_f64 v[36:37], v[60:61], s[2:3], -v[36:37]
	v_fma_f64 v[144:145], v[60:61], s[10:11], v[38:39]
	v_fma_f64 v[38:39], v[60:61], s[10:11], -v[38:39]
	;; [unrolled: 2-line block ×3, first 2 shown]
	v_fma_f64 v[96:97], v[58:59], s[2:3], -v[168:169]
	v_add_f64_e32 v[42:43], v[18:19], v[42:43]
	v_add_f64_e32 v[168:169], v[18:19], v[178:179]
	v_fma_f64 v[178:179], v[58:59], s[10:11], -v[170:171]
	v_add_f64_e32 v[70:71], v[16:17], v[70:71]
	v_fma_f64 v[170:171], v[58:59], s[10:11], v[170:171]
	v_fma_f64 v[58:59], v[58:59], s[14:15], v[86:87]
	v_add_f64_e32 v[40:41], v[18:19], v[40:41]
	v_add_f64_e32 v[120:121], v[16:17], v[120:121]
	;; [unrolled: 1-line block ×11, first 2 shown]
	v_fma_f64 v[74:75], v[88:89], s[2:3], -v[152:153]
	v_fma_f64 v[78:79], v[88:89], s[2:3], v[152:153]
	v_fma_f64 v[152:153], v[52:53], s[6:7], -v[172:173]
	v_fma_f64 v[188:189], v[88:89], s[14:15], -v[92:93]
	v_add_f64_e32 v[26:27], v[26:27], v[30:31]
	v_add_f64_e32 v[24:25], v[24:25], v[28:29]
	v_fma_f64 v[28:29], v[88:89], s[12:13], -v[150:151]
	v_fma_f64 v[30:31], v[88:89], s[12:13], v[150:151]
	v_fma_f64 v[150:151], v[52:53], s[6:7], v[172:173]
	;; [unrolled: 1-line block ×3, first 2 shown]
	v_fma_f64 v[52:53], v[52:53], s[14:15], -v[104:105]
	v_fma_f64 v[104:105], v[88:89], s[6:7], -v[174:175]
	v_fma_f64 v[174:175], v[88:89], s[6:7], v[174:175]
	v_fma_f64 v[88:89], v[88:89], s[14:15], v[92:93]
	v_mul_f64_e32 v[92:93], s[24:25], v[90:91]
	v_mul_f64_e32 v[90:91], s[26:27], v[90:91]
	v_add_f64_e32 v[96:97], v[96:97], v[180:181]
	v_add_f64_e32 v[36:37], v[36:37], v[44:45]
	;; [unrolled: 1-line block ×18, first 2 shown]
	v_mul_f64_e32 v[168:169], s[24:25], v[98:99]
	v_mul_f64_e32 v[98:99], s[0:1], v[98:99]
	;; [unrolled: 1-line block ×4, first 2 shown]
	v_fma_f64 v[76:77], v[62:63], s[14:15], v[138:139]
	v_fma_f64 v[80:81], v[62:63], s[14:15], -v[138:139]
	v_fma_f64 v[110:111], v[64:65], s[14:15], -v[140:141]
	v_fma_f64 v[116:117], v[64:65], s[14:15], v[140:141]
	v_add_f64_e32 v[22:23], v[26:27], v[22:23]
	v_add_f64_e32 v[20:21], v[24:25], v[20:21]
	v_add_f64_e64 v[24:25], v[84:85], -v[126:127]
	v_add_f64_e32 v[26:27], v[132:133], v[82:83]
	v_fma_f64 v[82:83], v[62:63], s[2:3], v[154:155]
	v_fma_f64 v[84:85], v[62:63], s[2:3], -v[154:155]
	v_fma_f64 v[118:119], v[64:65], s[2:3], -v[156:157]
	v_fma_f64 v[120:121], v[64:65], s[2:3], v[156:157]
	v_fma_f64 v[122:123], v[62:63], s[6:7], v[176:177]
	v_fma_f64 v[126:127], v[62:63], s[6:7], -v[176:177]
	v_fma_f64 v[132:133], v[62:63], s[10:11], v[106:107]
	v_fma_f64 v[62:63], v[62:63], s[10:11], -v[106:107]
	v_fma_f64 v[106:107], v[64:65], s[6:7], -v[92:93]
	v_fma_f64 v[92:93], v[64:65], s[6:7], v[92:93]
	v_fma_f64 v[138:139], v[64:65], s[10:11], -v[90:91]
	v_fma_f64 v[64:65], v[64:65], s[10:11], v[90:91]
	v_add_f64_e32 v[28:29], v[28:29], v[96:97]
	v_add_f64_e32 v[30:31], v[30:31], v[44:45]
	;; [unrolled: 1-line block ×18, first 2 shown]
	v_fma_f64 v[74:75], v[54:55], s[12:13], v[162:163]
	v_fma_f64 v[78:79], v[54:55], s[12:13], -v[162:163]
	v_fma_f64 v[86:87], v[56:57], s[10:11], -v[164:165]
	v_fma_f64 v[88:89], v[56:57], s[10:11], v[164:165]
	v_add_f64_e32 v[14:15], v[22:23], v[14:15]
	v_add_f64_e32 v[12:13], v[20:21], v[12:13]
	v_fma_f64 v[20:21], v[54:55], s[10:11], v[160:161]
	v_fma_f64 v[22:23], v[54:55], s[10:11], -v[160:161]
	v_fma_f64 v[96:97], v[56:57], s[12:13], -v[166:167]
	v_fma_f64 v[100:101], v[56:57], s[12:13], v[166:167]
	v_fma_f64 v[102:103], v[54:55], s[6:7], v[168:169]
	v_fma_f64 v[104:105], v[54:55], s[6:7], -v[168:169]
	v_fma_f64 v[108:109], v[54:55], s[2:3], v[98:99]
	v_fma_f64 v[54:55], v[54:55], s[2:3], -v[98:99]
	v_fma_f64 v[98:99], v[56:57], s[6:7], -v[180:181]
	v_fma_f64 v[124:125], v[56:57], s[6:7], v[180:181]
	v_fma_f64 v[128:129], v[56:57], s[2:3], -v[94:95]
	v_fma_f64 v[56:57], v[56:57], s[2:3], v[94:95]
	v_add_f64_e32 v[28:29], v[106:107], v[28:29]
	v_add_f64_e32 v[30:31], v[92:93], v[30:31]
	v_add_f64_e32 v[42:43], v[62:63], v[42:43]
	v_add_f64_e32 v[34:35], v[64:65], v[34:35]
	v_add_f64_e32 v[40:41], v[84:85], v[40:41]
	v_add_f64_e32 v[52:53], v[120:121], v[52:53]
	v_add_f64_e32 v[90:91], v[122:123], v[90:91]
	v_add_f64_e32 v[36:37], v[126:127], v[36:37]
	v_add_f64_e32 v[44:45], v[76:77], v[44:45]
	v_add_f64_e32 v[46:47], v[110:111], v[46:47]
	v_add_f64_e32 v[38:39], v[80:81], v[38:39]
	v_add_f64_e32 v[72:73], v[116:117], v[72:73]
	v_add_f64_e32 v[58:59], v[82:83], v[58:59]
	v_add_f64_e32 v[60:61], v[118:119], v[60:61]
	v_add_f64_e32 v[62:63], v[132:133], v[70:71]
	v_add_f64_e32 v[64:65], v[138:139], v[32:33]
	v_add_f64_e32 v[70:71], v[24:25], v[18:19]
	v_add_f64_e32 v[76:77], v[26:27], v[16:17]
	v_add_f64_e32 v[80:81], v[14:15], v[10:11]
	v_add_f64_e32 v[82:83], v[12:13], v[8:9]
	v_add_f64_e32 v[8:9], v[86:87], v[28:29]
	v_add_f64_e32 v[12:13], v[88:89], v[30:31]
	v_add_f64_e32 v[30:31], v[54:55], v[42:43]
	v_add_f64_e32 v[28:29], v[56:57], v[34:35]
	v_add_f64_e32 v[26:27], v[78:79], v[40:41]
	v_add_f64_e32 v[24:25], v[100:101], v[52:53]
	v_add_f64_e32 v[10:11], v[20:21], v[90:91]
	v_add_f64_e32 v[14:15], v[22:23], v[36:37]
	v_add_f64_e32 v[18:19], v[102:103], v[44:45]
	v_add_f64_e32 v[16:17], v[98:99], v[46:47]
	v_add_f64_e32 v[22:23], v[104:105], v[38:39]
	v_add_f64_e32 v[20:21], v[124:125], v[72:73]
	v_add_f64_e32 v[34:35], v[74:75], v[58:59]
	v_add_f64_e32 v[32:33], v[96:97], v[60:61]
	v_add_f64_e32 v[38:39], v[108:109], v[62:63]
	v_add_f64_e32 v[36:37], v[128:129], v[64:65]
	v_add_f64_e32 v[42:43], v[68:69], v[70:71]
	v_add_f64_e32 v[40:41], v[66:67], v[76:77]
	v_mul_u32_u24_e32 v44, 0xa0, v48
	v_add_f64_e32 v[6:7], v[80:81], v[6:7]
	v_add_f64_e32 v[4:5], v[82:83], v[4:5]
	s_delay_alu instid0(VALU_DEP_3)
	v_add3_u32 v44, v115, v44, v113
	ds_store_b128 v44, v[28:31] offset:32
	ds_store_b128 v44, v[24:27] offset:48
	ds_store_b128 v44, v[20:23] offset:64
	ds_store_b128 v44, v[12:15] offset:80
	ds_store_b128 v44, v[8:11] offset:96
	ds_store_b128 v44, v[16:19] offset:112
	ds_store_b128 v44, v[32:35] offset:128
	ds_store_b128 v44, v[36:39] offset:144
	ds_store_b128 v44, v[40:43] offset:16
	ds_store_b128 v44, v[4:7]
	ds_store_b128 v44, v[0:3] offset:160
.LBB0_18:
	s_or_b32 exec_lo, exec_lo, s28
	v_and_b32_e32 v4, 0xff, v48
	global_wb scope:SCOPE_SE
	s_wait_dscnt 0x0
	s_barrier_signal -1
	s_barrier_wait -1
	global_inv scope:SCOPE_SE
	v_mul_lo_u16 v4, 0x75, v4
	s_mov_b32 s6, 0x134454ff
	s_mov_b32 s7, 0xbfee6f0e
	;; [unrolled: 1-line block ×3, first 2 shown]
	s_wait_alu 0xfffe
	s_mov_b32 s0, s6
	v_lshrrev_b16 v4, 8, v4
	s_mov_b32 s12, 0x4755a5e
	s_mov_b32 s13, 0xbfe2cf23
	;; [unrolled: 1-line block ×3, first 2 shown]
	s_wait_alu 0xfffe
	s_mov_b32 s2, s12
	v_sub_nc_u16 v5, v48, v4
	s_mov_b32 s10, 0x372fe950
	s_mov_b32 s11, 0x3fd3c6ef
	;; [unrolled: 1-line block ×4, first 2 shown]
	v_lshrrev_b16 v5, 1, v5
	s_mov_b32 s17, 0xbfd3c6ef
	s_wait_alu 0xfffe
	s_mov_b32 s16, s10
	s_mov_b32 s19, 0xbfe9e377
	s_mov_b32 s18, s14
	v_and_b32_e32 v5, 0x7f, v5
	s_delay_alu instid0(VALU_DEP_1) | instskip(NEXT) | instid1(VALU_DEP_1)
	v_add_nc_u16 v4, v5, v4
	v_lshrrev_b16 v8, 3, v4
	s_delay_alu instid0(VALU_DEP_1) | instskip(SKIP_1) | instid1(VALU_DEP_2)
	v_mul_lo_u16 v4, v8, 11
	v_and_b32_e32 v8, 0xffff, v8
	v_sub_nc_u16 v4, v48, v4
	s_delay_alu instid0(VALU_DEP_2) | instskip(NEXT) | instid1(VALU_DEP_2)
	v_mad_u32_u24 v8, 0x6e0, v8, 0
	v_and_b32_e32 v9, 0xff, v4
	s_delay_alu instid0(VALU_DEP_1) | instskip(SKIP_1) | instid1(VALU_DEP_2)
	v_mul_u32_u24_e32 v4, 9, v9
	v_lshlrev_b32_e32 v9, 4, v9
	v_lshlrev_b32_e32 v38, 4, v4
	s_delay_alu instid0(VALU_DEP_2)
	v_add3_u32 v8, v8, v9, v113
	s_clause 0x8
	global_load_b128 v[4:7], v38, s[4:5] offset:32
	global_load_b128 v[10:13], v38, s[4:5] offset:64
	;; [unrolled: 1-line block ×4, first 2 shown]
	global_load_b128 v[22:25], v38, s[4:5]
	global_load_b128 v[26:29], v38, s[4:5] offset:16
	global_load_b128 v[30:33], v38, s[4:5] offset:48
	;; [unrolled: 1-line block ×4, first 2 shown]
	ds_load_b128 v[42:45], v49 offset:1584
	ds_load_b128 v[52:55], v49 offset:2640
	ds_load_b128 v[56:59], v49 offset:3696
	ds_load_b128 v[60:63], v49 offset:4752
	ds_load_b128 v[64:67], v49 offset:528
	ds_load_b128 v[68:71], v49 offset:1056
	s_wait_loadcnt_dscnt 0x805
	v_mul_f64_e32 v[46:47], v[42:43], v[6:7]
	s_wait_loadcnt_dscnt 0x704
	v_mul_f64_e32 v[72:73], v[52:53], v[12:13]
	s_wait_loadcnt_dscnt 0x603
	v_mul_f64_e32 v[74:75], v[56:57], v[16:17]
	s_wait_loadcnt_dscnt 0x502
	v_mul_f64_e32 v[76:77], v[60:61], v[20:21]
	s_wait_loadcnt_dscnt 0x401
	v_mul_f64_e32 v[80:81], v[64:65], v[24:25]
	v_mul_f64_e32 v[6:7], v[44:45], v[6:7]
	v_mul_f64_e32 v[12:13], v[54:55], v[12:13]
	;; [unrolled: 1-line block ×4, first 2 shown]
	s_wait_loadcnt_dscnt 0x300
	v_mul_f64_e32 v[84:85], v[70:71], v[28:29]
	v_mul_f64_e32 v[28:29], v[68:69], v[28:29]
	;; [unrolled: 1-line block ×3, first 2 shown]
	v_fma_f64 v[82:83], v[44:45], v[4:5], -v[46:47]
	v_fma_f64 v[54:55], v[54:55], v[10:11], -v[72:73]
	;; [unrolled: 1-line block ×4, first 2 shown]
	ds_load_b128 v[44:47], v49 offset:2112
	ds_load_b128 v[72:75], v49 offset:3168
	;; [unrolled: 1-line block ×3, first 2 shown]
	v_fma_f64 v[42:43], v[42:43], v[4:5], v[6:7]
	v_fma_f64 v[10:11], v[52:53], v[10:11], v[12:13]
	;; [unrolled: 1-line block ×4, first 2 shown]
	v_fma_f64 v[16:17], v[66:67], v[22:23], -v[80:81]
	v_fma_f64 v[18:19], v[68:69], v[26:27], v[84:85]
	v_fma_f64 v[20:21], v[70:71], v[26:27], -v[28:29]
	v_fma_f64 v[22:23], v[64:65], v[22:23], v[24:25]
	s_wait_loadcnt_dscnt 0x202
	v_mul_f64_e32 v[86:87], v[46:47], v[32:33]
	v_mul_f64_e32 v[32:33], v[44:45], v[32:33]
	s_wait_loadcnt_dscnt 0x101
	v_mul_f64_e32 v[88:89], v[74:75], v[36:37]
	s_wait_loadcnt_dscnt 0x0
	v_mul_f64_e32 v[90:91], v[78:79], v[40:41]
	v_mul_f64_e32 v[36:37], v[72:73], v[36:37]
	;; [unrolled: 1-line block ×3, first 2 shown]
	v_add_f64_e64 v[70:71], v[82:83], -v[54:55]
	v_add_f64_e32 v[4:5], v[54:55], v[58:59]
	v_add_f64_e32 v[6:7], v[82:83], v[62:63]
	v_add_f64_e64 v[68:69], v[82:83], -v[62:63]
	v_add_f64_e64 v[94:95], v[42:43], -v[10:11]
	v_add_f64_e32 v[24:25], v[10:11], v[12:13]
	v_add_f64_e64 v[96:97], v[14:15], -v[12:13]
	v_add_f64_e64 v[98:99], v[12:13], -v[14:15]
	v_fma_f64 v[26:27], v[44:45], v[30:31], v[86:87]
	v_fma_f64 v[28:29], v[46:47], v[30:31], -v[32:33]
	v_fma_f64 v[30:31], v[72:73], v[34:35], v[88:89]
	v_fma_f64 v[32:33], v[76:77], v[38:39], v[90:91]
	v_fma_f64 v[34:35], v[74:75], v[34:35], -v[36:37]
	v_fma_f64 v[36:37], v[78:79], v[38:39], -v[40:41]
	v_add_f64_e32 v[38:39], v[42:43], v[14:15]
	v_add_f64_e64 v[40:41], v[42:43], -v[14:15]
	v_add_f64_e64 v[44:45], v[10:11], -v[12:13]
	;; [unrolled: 1-line block ×6, first 2 shown]
	v_fma_f64 v[46:47], v[4:5], -0.5, v[16:17]
	v_fma_f64 v[52:53], v[6:7], -0.5, v[16:17]
	ds_load_b128 v[4:7], v114
	v_add_f64_e32 v[16:17], v[16:17], v[82:83]
	global_wb scope:SCOPE_SE
	s_wait_dscnt 0x0
	v_fma_f64 v[24:25], v[24:25], -0.5, v[22:23]
	s_barrier_signal -1
	s_barrier_wait -1
	global_inv scope:SCOPE_SE
	v_add_f64_e64 v[100:101], v[20:21], -v[28:29]
	v_add_f64_e32 v[56:57], v[26:27], v[30:31]
	v_add_f64_e32 v[60:61], v[18:19], v[32:33]
	;; [unrolled: 1-line block ×4, first 2 shown]
	v_fma_f64 v[38:39], v[38:39], -0.5, v[22:23]
	v_add_f64_e32 v[86:87], v[4:5], v[18:19]
	v_add_f64_e32 v[92:93], v[6:7], v[20:21]
	;; [unrolled: 1-line block ×3, first 2 shown]
	v_add_f64_e64 v[88:89], v[20:21], -v[36:37]
	v_add_f64_e64 v[90:91], v[28:29], -v[34:35]
	v_add_f64_e64 v[42:43], v[10:11], -v[42:43]
	v_add_f64_e64 v[82:83], v[18:19], -v[32:33]
	v_add_f64_e64 v[20:21], v[28:29], -v[20:21]
	v_add_f64_e64 v[102:103], v[36:37], -v[34:35]
	v_add_f64_e64 v[104:105], v[34:35], -v[36:37]
	v_fma_f64 v[80:81], v[40:41], s[0:1], v[46:47]
	v_fma_f64 v[84:85], v[44:45], s[6:7], v[52:53]
	;; [unrolled: 1-line block ×4, first 2 shown]
	v_add_f64_e32 v[16:17], v[16:17], v[54:55]
	v_fma_f64 v[56:57], v[56:57], -0.5, v[4:5]
	v_fma_f64 v[4:5], v[60:61], -0.5, v[4:5]
	;; [unrolled: 1-line block ×4, first 2 shown]
	v_add_f64_e32 v[66:67], v[70:71], v[72:73]
	v_add_f64_e32 v[70:71], v[74:75], v[76:77]
	v_fma_f64 v[72:73], v[68:69], s[6:7], v[24:25]
	v_fma_f64 v[24:25], v[68:69], s[0:1], v[24:25]
	;; [unrolled: 1-line block ×4, first 2 shown]
	v_add_f64_e64 v[60:61], v[26:27], -v[30:31]
	v_add_f64_e32 v[28:29], v[92:93], v[28:29]
	v_add_f64_e32 v[10:11], v[22:23], v[10:11]
	;; [unrolled: 1-line block ×5, first 2 shown]
	v_fma_f64 v[76:77], v[44:45], s[2:3], v[80:81]
	v_fma_f64 v[80:81], v[40:41], s[2:3], v[84:85]
	v_fma_f64 v[40:41], v[40:41], s[12:13], v[52:53]
	v_fma_f64 v[44:45], v[44:45], s[12:13], v[46:47]
	v_add_f64_e64 v[46:47], v[18:19], -v[26:27]
	v_add_f64_e64 v[18:19], v[26:27], -v[18:19]
	v_add_f64_e32 v[26:27], v[86:87], v[26:27]
	v_add_f64_e64 v[52:53], v[32:33], -v[30:31]
	v_add_f64_e64 v[84:85], v[30:31], -v[32:33]
	v_fma_f64 v[54:55], v[88:89], s[6:7], v[56:57]
	v_fma_f64 v[56:57], v[88:89], s[0:1], v[56:57]
	;; [unrolled: 1-line block ×12, first 2 shown]
	v_add_f64_e32 v[28:29], v[28:29], v[34:35]
	v_add_f64_e32 v[10:11], v[10:11], v[12:13]
	v_add_f64_e32 v[12:13], v[16:17], v[58:59]
	v_fma_f64 v[68:69], v[66:67], s[10:11], v[76:77]
	v_fma_f64 v[76:77], v[70:71], s[10:11], v[80:81]
	;; [unrolled: 1-line block ×4, first 2 shown]
	v_add_f64_e32 v[26:27], v[26:27], v[30:31]
	v_add_f64_e32 v[46:47], v[46:47], v[52:53]
	;; [unrolled: 1-line block ×4, first 2 shown]
	v_fma_f64 v[16:17], v[90:91], s[12:13], v[54:55]
	v_fma_f64 v[30:31], v[90:91], s[2:3], v[56:57]
	;; [unrolled: 1-line block ×12, first 2 shown]
	v_add_f64_e32 v[28:29], v[28:29], v[36:37]
	v_add_f64_e32 v[14:15], v[10:11], v[14:15]
	v_mul_f64_e32 v[42:43], s[12:13], v[68:69]
	v_mul_f64_e32 v[68:69], s[14:15], v[68:69]
	;; [unrolled: 1-line block ×5, first 2 shown]
	s_wait_alu 0xfffe
	v_mul_f64_e32 v[40:41], s[16:17], v[40:41]
	v_mul_f64_e32 v[70:71], s[12:13], v[44:45]
	;; [unrolled: 1-line block ×3, first 2 shown]
	v_add_f64_e32 v[26:27], v[26:27], v[32:33]
	v_add_f64_e32 v[32:33], v[12:13], v[62:63]
	v_fma_f64 v[36:37], v[46:47], s[10:11], v[16:17]
	v_fma_f64 v[46:47], v[46:47], s[10:11], v[30:31]
	;; [unrolled: 1-line block ×16, first 2 shown]
	v_add_f64_e32 v[10:11], v[26:27], v[14:15]
	v_add_f64_e32 v[12:13], v[28:29], v[32:33]
	v_add_f64_e64 v[14:15], v[26:27], -v[14:15]
	v_add_f64_e64 v[16:17], v[28:29], -v[32:33]
	v_cmp_gt_u32_e64 s0, 11, v48
	v_add_f64_e32 v[18:19], v[36:37], v[34:35]
	v_add_f64_e32 v[20:21], v[54:55], v[60:61]
	;; [unrolled: 1-line block ×8, first 2 shown]
	v_add_f64_e64 v[34:35], v[36:37], -v[34:35]
	v_add_f64_e64 v[36:37], v[54:55], -v[60:61]
	v_add_f64_e64 v[38:39], v[62:63], -v[42:43]
	v_add_f64_e64 v[40:41], v[56:57], -v[66:67]
	v_add_f64_e64 v[42:43], v[4:5], -v[58:59]
	v_add_f64_e64 v[44:45], v[6:7], -v[68:69]
	v_add_f64_e64 v[4:5], v[46:47], -v[64:65]
	v_add_f64_e64 v[6:7], v[52:53], -v[70:71]
	ds_store_b128 v8, v[10:13]
	ds_store_b128 v8, v[18:21] offset:176
	ds_store_b128 v8, v[22:25] offset:352
	;; [unrolled: 1-line block ×9, first 2 shown]
	global_wb scope:SCOPE_SE
	s_wait_dscnt 0x0
	s_barrier_signal -1
	s_barrier_wait -1
	global_inv scope:SCOPE_SE
	ds_load_b128 v[20:23], v114
	ds_load_b128 v[12:15], v49 offset:528
	ds_load_b128 v[36:39], v49 offset:3520
	ds_load_b128 v[24:27], v49 offset:4048
	ds_load_b128 v[44:47], v49 offset:1760
	ds_load_b128 v[16:19], v49 offset:1056
	ds_load_b128 v[40:43], v49 offset:2288
	ds_load_b128 v[28:31], v49 offset:2816
	ds_load_b128 v[32:35], v49 offset:4576
                                        ; implicit-def: $vgpr10_vgpr11
	s_and_saveexec_b32 s1, s0
	s_cbranch_execz .LBB0_20
; %bb.19:
	ds_load_b128 v[4:7], v49 offset:1584
	ds_load_b128 v[0:3], v49 offset:3344
	;; [unrolled: 1-line block ×3, first 2 shown]
.LBB0_20:
	s_wait_alu 0xfffe
	s_or_b32 exec_lo, exec_lo, s1
	v_dual_mov_b32 v53, 0 :: v_dual_lshlrev_b32 v52, 1, v48
	s_mov_b32 s2, 0xe8584caa
	s_mov_b32 s3, 0xbfebb67a
	;; [unrolled: 1-line block ×3, first 2 shown]
	s_delay_alu instid0(VALU_DEP_1)
	v_dual_mov_b32 v57, v53 :: v_dual_add_nc_u32 v56, 0x42, v52
	v_lshlrev_b64_e32 v[54:55], 4, v[52:53]
	v_add_nc_u32_e32 v52, 0x84, v52
	s_wait_alu 0xfffe
	s_mov_b32 s6, s2
	v_lshlrev_b64_e32 v[62:63], 4, v[56:57]
	s_delay_alu instid0(VALU_DEP_3) | instskip(SKIP_3) | instid1(VALU_DEP_4)
	v_add_co_u32 v58, s1, s4, v54
	v_lshlrev_b64_e32 v[64:65], 4, v[52:53]
	s_wait_alu 0xf1ff
	v_add_co_ci_u32_e64 v59, s1, s5, v55, s1
	v_add_co_u32 v66, s1, s4, v62
	s_wait_alu 0xf1ff
	v_add_co_ci_u32_e64 v67, s1, s5, v63, s1
	s_clause 0x1
	global_load_b128 v[54:57], v[58:59], off offset:1600
	global_load_b128 v[58:61], v[58:59], off offset:1584
	v_add_co_u32 v74, s1, s4, v64
	s_wait_alu 0xf1ff
	v_add_co_ci_u32_e64 v75, s1, s5, v65, s1
	s_clause 0x3
	global_load_b128 v[62:65], v[66:67], off offset:1584
	global_load_b128 v[66:69], v[66:67], off offset:1600
	;; [unrolled: 1-line block ×4, first 2 shown]
	global_wb scope:SCOPE_SE
	s_wait_loadcnt_dscnt 0x0
	s_barrier_signal -1
	s_barrier_wait -1
	global_inv scope:SCOPE_SE
	v_mul_f64_e32 v[80:81], v[38:39], v[56:57]
	v_mul_f64_e32 v[78:79], v[46:47], v[60:61]
	;; [unrolled: 1-line block ×12, first 2 shown]
	v_fma_f64 v[36:37], v[36:37], v[54:55], v[80:81]
	v_fma_f64 v[44:45], v[44:45], v[58:59], v[78:79]
	v_fma_f64 v[46:47], v[46:47], v[58:59], -v[60:61]
	v_fma_f64 v[38:39], v[38:39], v[54:55], -v[56:57]
	v_fma_f64 v[40:41], v[40:41], v[62:63], v[82:83]
	v_fma_f64 v[24:25], v[24:25], v[66:67], v[84:85]
	v_fma_f64 v[42:43], v[42:43], v[62:63], -v[64:65]
	v_fma_f64 v[26:27], v[26:27], v[66:67], -v[68:69]
	;; [unrolled: 4-line block ×3, first 2 shown]
	v_add_f64_e32 v[54:55], v[44:45], v[36:37]
	v_add_f64_e32 v[66:67], v[20:21], v[44:45]
	;; [unrolled: 1-line block ×3, first 2 shown]
	v_add_f64_e64 v[68:69], v[46:47], -v[38:39]
	v_add_f64_e32 v[58:59], v[40:41], v[24:25]
	v_add_f64_e32 v[46:47], v[22:23], v[46:47]
	;; [unrolled: 1-line block ×7, first 2 shown]
	v_add_f64_e64 v[44:45], v[44:45], -v[36:37]
	v_add_f64_e32 v[74:75], v[16:17], v[28:29]
	v_add_f64_e32 v[76:77], v[18:19], v[30:31]
	v_add_f64_e64 v[42:43], v[42:43], -v[26:27]
	v_add_f64_e64 v[40:41], v[40:41], -v[24:25]
	;; [unrolled: 1-line block ×4, first 2 shown]
	v_fma_f64 v[54:55], v[54:55], -0.5, v[20:21]
	v_fma_f64 v[56:57], v[56:57], -0.5, v[22:23]
	;; [unrolled: 1-line block ×3, first 2 shown]
	v_add_f64_e32 v[12:13], v[66:67], v[36:37]
	v_fma_f64 v[60:61], v[60:61], -0.5, v[14:15]
	v_add_f64_e32 v[14:15], v[46:47], v[38:39]
	v_fma_f64 v[62:63], v[62:63], -0.5, v[16:17]
	;; [unrolled: 2-line block ×3, first 2 shown]
	v_add_f64_e32 v[18:19], v[72:73], v[26:27]
	v_add_f64_e32 v[20:21], v[74:75], v[32:33]
	;; [unrolled: 1-line block ×3, first 2 shown]
	v_fma_f64 v[24:25], v[68:69], s[2:3], v[54:55]
	s_wait_alu 0xfffe
	v_fma_f64 v[28:29], v[68:69], s[6:7], v[54:55]
	v_fma_f64 v[26:27], v[44:45], s[6:7], v[56:57]
	;; [unrolled: 1-line block ×11, first 2 shown]
	ds_store_b128 v49, v[12:15]
	ds_store_b128 v49, v[16:19] offset:528
	ds_store_b128 v49, v[24:27] offset:1760
	;; [unrolled: 1-line block ×8, first 2 shown]
	s_and_saveexec_b32 s1, s0
	s_cbranch_execz .LBB0_22
; %bb.21:
	v_cndmask_b32_e64 v12, -11, 0x63, s0
	s_delay_alu instid0(VALU_DEP_1) | instskip(NEXT) | instid1(VALU_DEP_1)
	v_add_lshl_u32 v52, v48, v12, 1
	v_lshlrev_b64_e32 v[12:13], 4, v[52:53]
	s_delay_alu instid0(VALU_DEP_1) | instskip(SKIP_1) | instid1(VALU_DEP_2)
	v_add_co_u32 v16, s0, s4, v12
	s_wait_alu 0xf1ff
	v_add_co_ci_u32_e64 v17, s0, s5, v13, s0
	s_clause 0x1
	global_load_b128 v[12:15], v[16:17], off offset:1584
	global_load_b128 v[16:19], v[16:17], off offset:1600
	s_wait_loadcnt 0x1
	v_mul_f64_e32 v[20:21], v[0:1], v[14:15]
	s_wait_loadcnt 0x0
	v_mul_f64_e32 v[22:23], v[8:9], v[18:19]
	v_mul_f64_e32 v[14:15], v[2:3], v[14:15]
	;; [unrolled: 1-line block ×3, first 2 shown]
	s_delay_alu instid0(VALU_DEP_4) | instskip(NEXT) | instid1(VALU_DEP_4)
	v_fma_f64 v[2:3], v[2:3], v[12:13], -v[20:21]
	v_fma_f64 v[10:11], v[10:11], v[16:17], -v[22:23]
	s_delay_alu instid0(VALU_DEP_4) | instskip(NEXT) | instid1(VALU_DEP_4)
	v_fma_f64 v[0:1], v[0:1], v[12:13], v[14:15]
	v_fma_f64 v[8:9], v[8:9], v[16:17], v[18:19]
	s_delay_alu instid0(VALU_DEP_4) | instskip(NEXT) | instid1(VALU_DEP_4)
	v_add_f64_e32 v[18:19], v[6:7], v[2:3]
	v_add_f64_e32 v[12:13], v[2:3], v[10:11]
	v_add_f64_e64 v[20:21], v[2:3], -v[10:11]
	s_delay_alu instid0(VALU_DEP_4)
	v_add_f64_e32 v[14:15], v[0:1], v[8:9]
	v_add_f64_e64 v[16:17], v[0:1], -v[8:9]
	v_add_f64_e32 v[0:1], v[4:5], v[0:1]
	v_add_f64_e32 v[2:3], v[18:19], v[10:11]
	v_fma_f64 v[12:13], v[12:13], -0.5, v[6:7]
	v_fma_f64 v[4:5], v[14:15], -0.5, v[4:5]
	s_delay_alu instid0(VALU_DEP_4) | instskip(NEXT) | instid1(VALU_DEP_3)
	v_add_f64_e32 v[0:1], v[0:1], v[8:9]
	v_fma_f64 v[10:11], v[16:17], s[6:7], v[12:13]
	v_fma_f64 v[6:7], v[16:17], s[2:3], v[12:13]
	s_delay_alu instid0(VALU_DEP_4)
	v_fma_f64 v[8:9], v[20:21], s[2:3], v[4:5]
	v_fma_f64 v[4:5], v[20:21], s[6:7], v[4:5]
	ds_store_b128 v49, v[0:3] offset:1584
	ds_store_b128 v49, v[8:11] offset:3344
	;; [unrolled: 1-line block ×3, first 2 shown]
.LBB0_22:
	s_wait_alu 0xfffe
	s_or_b32 exec_lo, exec_lo, s1
	global_wb scope:SCOPE_SE
	s_wait_dscnt 0x0
	s_barrier_signal -1
	s_barrier_wait -1
	global_inv scope:SCOPE_SE
	s_and_saveexec_b32 s0, vcc_lo
	s_cbranch_execz .LBB0_24
; %bb.23:
	v_dual_mov_b32 v49, 0 :: v_dual_add_nc_u32 v8, 33, v48
	v_add_co_u32 v36, vcc_lo, s8, v50
	v_lshl_add_u32 v34, v48, 4, v112
	s_delay_alu instid0(VALU_DEP_3) | instskip(SKIP_4) | instid1(VALU_DEP_4)
	v_lshlrev_b64_e32 v[0:1], 4, v[48:49]
	s_wait_alu 0xfffd
	v_add_co_ci_u32_e32 v37, vcc_lo, s9, v51, vcc_lo
	v_dual_mov_b32 v9, v49 :: v_dual_add_nc_u32 v10, 0x42, v48
	v_dual_mov_b32 v11, v49 :: v_dual_add_nc_u32 v22, 0x63, v48
	v_add_co_u32 v16, vcc_lo, v36, v0
	s_wait_alu 0xfffd
	v_add_co_ci_u32_e32 v17, vcc_lo, v37, v1, vcc_lo
	ds_load_b128 v[0:3], v34
	ds_load_b128 v[4:7], v34 offset:528
	v_lshlrev_b64_e32 v[18:19], 4, v[8:9]
	v_lshlrev_b64_e32 v[20:21], 4, v[10:11]
	ds_load_b128 v[8:11], v34 offset:1056
	ds_load_b128 v[12:15], v34 offset:1584
	v_dual_mov_b32 v23, v49 :: v_dual_add_nc_u32 v24, 0x84, v48
	v_mov_b32_e32 v25, v49
	v_add_co_u32 v18, vcc_lo, v36, v18
	s_delay_alu instid0(VALU_DEP_3)
	v_lshlrev_b64_e32 v[22:23], 4, v[22:23]
	s_wait_alu 0xfffd
	v_add_co_ci_u32_e32 v19, vcc_lo, v37, v19, vcc_lo
	v_add_co_u32 v20, vcc_lo, v36, v20
	s_wait_alu 0xfffd
	v_add_co_ci_u32_e32 v21, vcc_lo, v37, v21, vcc_lo
	v_add_co_u32 v22, vcc_lo, v36, v22
	s_wait_dscnt 0x3
	global_store_b128 v[16:17], v[0:3], off
	s_wait_dscnt 0x2
	global_store_b128 v[18:19], v[4:7], off
	v_dual_mov_b32 v3, v49 :: v_dual_add_nc_u32 v2, 0xa5, v48
	s_wait_alu 0xfffd
	v_add_co_ci_u32_e32 v23, vcc_lo, v37, v23, vcc_lo
	v_lshlrev_b64_e32 v[0:1], 4, v[24:25]
	s_wait_dscnt 0x1
	global_store_b128 v[20:21], v[8:11], off
	s_wait_dscnt 0x0
	global_store_b128 v[22:23], v[12:15], off
	v_add_nc_u32_e32 v10, 0xc6, v48
	v_lshlrev_b64_e32 v[8:9], 4, v[2:3]
	v_dual_mov_b32 v11, v49 :: v_dual_add_nc_u32 v16, 0xe7, v48
	v_add_co_u32 v24, vcc_lo, v36, v0
	s_wait_alu 0xfffd
	v_add_co_ci_u32_e32 v25, vcc_lo, v37, v1, vcc_lo
	s_delay_alu instid0(VALU_DEP_4)
	v_add_co_u32 v26, vcc_lo, v36, v8
	s_wait_alu 0xfffd
	v_add_co_ci_u32_e32 v27, vcc_lo, v37, v9, vcc_lo
	v_lshlrev_b64_e32 v[8:9], 4, v[10:11]
	v_dual_mov_b32 v17, v49 :: v_dual_add_nc_u32 v18, 0x108, v48
	v_dual_mov_b32 v19, v49 :: v_dual_add_nc_u32 v48, 0x129, v48
	ds_load_b128 v[0:3], v34 offset:2112
	ds_load_b128 v[4:7], v34 offset:2640
	v_add_co_u32 v28, vcc_lo, v36, v8
	s_wait_alu 0xfffd
	v_add_co_ci_u32_e32 v29, vcc_lo, v37, v9, vcc_lo
	ds_load_b128 v[8:11], v34 offset:3168
	ds_load_b128 v[12:15], v34 offset:3696
	v_lshlrev_b64_e32 v[30:31], 4, v[16:17]
	v_lshlrev_b64_e32 v[32:33], 4, v[18:19]
	ds_load_b128 v[16:19], v34 offset:4224
	ds_load_b128 v[20:23], v34 offset:4752
	v_lshlrev_b64_e32 v[34:35], 4, v[48:49]
	v_add_co_u32 v30, vcc_lo, v36, v30
	s_wait_alu 0xfffd
	v_add_co_ci_u32_e32 v31, vcc_lo, v37, v31, vcc_lo
	v_add_co_u32 v32, vcc_lo, v36, v32
	s_wait_alu 0xfffd
	v_add_co_ci_u32_e32 v33, vcc_lo, v37, v33, vcc_lo
	;; [unrolled: 3-line block ×3, first 2 shown]
	s_wait_dscnt 0x5
	global_store_b128 v[24:25], v[0:3], off
	s_wait_dscnt 0x4
	global_store_b128 v[26:27], v[4:7], off
	;; [unrolled: 2-line block ×6, first 2 shown]
.LBB0_24:
	s_nop 0
	s_sendmsg sendmsg(MSG_DEALLOC_VGPRS)
	s_endpgm
	.section	.rodata,"a",@progbits
	.p2align	6, 0x0
	.amdhsa_kernel fft_rtc_back_len330_factors_11_10_3_wgs_99_tpt_33_dp_ip_CI_unitstride_sbrr_C2R_dirReg
		.amdhsa_group_segment_fixed_size 0
		.amdhsa_private_segment_fixed_size 0
		.amdhsa_kernarg_size 88
		.amdhsa_user_sgpr_count 2
		.amdhsa_user_sgpr_dispatch_ptr 0
		.amdhsa_user_sgpr_queue_ptr 0
		.amdhsa_user_sgpr_kernarg_segment_ptr 1
		.amdhsa_user_sgpr_dispatch_id 0
		.amdhsa_user_sgpr_private_segment_size 0
		.amdhsa_wavefront_size32 1
		.amdhsa_uses_dynamic_stack 0
		.amdhsa_enable_private_segment 0
		.amdhsa_system_sgpr_workgroup_id_x 1
		.amdhsa_system_sgpr_workgroup_id_y 0
		.amdhsa_system_sgpr_workgroup_id_z 0
		.amdhsa_system_sgpr_workgroup_info 0
		.amdhsa_system_vgpr_workitem_id 0
		.amdhsa_next_free_vgpr 192
		.amdhsa_next_free_sgpr 32
		.amdhsa_reserve_vcc 1
		.amdhsa_float_round_mode_32 0
		.amdhsa_float_round_mode_16_64 0
		.amdhsa_float_denorm_mode_32 3
		.amdhsa_float_denorm_mode_16_64 3
		.amdhsa_fp16_overflow 0
		.amdhsa_workgroup_processor_mode 1
		.amdhsa_memory_ordered 1
		.amdhsa_forward_progress 0
		.amdhsa_round_robin_scheduling 0
		.amdhsa_exception_fp_ieee_invalid_op 0
		.amdhsa_exception_fp_denorm_src 0
		.amdhsa_exception_fp_ieee_div_zero 0
		.amdhsa_exception_fp_ieee_overflow 0
		.amdhsa_exception_fp_ieee_underflow 0
		.amdhsa_exception_fp_ieee_inexact 0
		.amdhsa_exception_int_div_zero 0
	.end_amdhsa_kernel
	.text
.Lfunc_end0:
	.size	fft_rtc_back_len330_factors_11_10_3_wgs_99_tpt_33_dp_ip_CI_unitstride_sbrr_C2R_dirReg, .Lfunc_end0-fft_rtc_back_len330_factors_11_10_3_wgs_99_tpt_33_dp_ip_CI_unitstride_sbrr_C2R_dirReg
                                        ; -- End function
	.section	.AMDGPU.csdata,"",@progbits
; Kernel info:
; codeLenInByte = 8576
; NumSgprs: 34
; NumVgprs: 192
; ScratchSize: 0
; MemoryBound: 0
; FloatMode: 240
; IeeeMode: 1
; LDSByteSize: 0 bytes/workgroup (compile time only)
; SGPRBlocks: 4
; VGPRBlocks: 23
; NumSGPRsForWavesPerEU: 34
; NumVGPRsForWavesPerEU: 192
; Occupancy: 8
; WaveLimiterHint : 1
; COMPUTE_PGM_RSRC2:SCRATCH_EN: 0
; COMPUTE_PGM_RSRC2:USER_SGPR: 2
; COMPUTE_PGM_RSRC2:TRAP_HANDLER: 0
; COMPUTE_PGM_RSRC2:TGID_X_EN: 1
; COMPUTE_PGM_RSRC2:TGID_Y_EN: 0
; COMPUTE_PGM_RSRC2:TGID_Z_EN: 0
; COMPUTE_PGM_RSRC2:TIDIG_COMP_CNT: 0
	.text
	.p2alignl 7, 3214868480
	.fill 96, 4, 3214868480
	.type	__hip_cuid_30946dd0a0fa5260,@object ; @__hip_cuid_30946dd0a0fa5260
	.section	.bss,"aw",@nobits
	.globl	__hip_cuid_30946dd0a0fa5260
__hip_cuid_30946dd0a0fa5260:
	.byte	0                               ; 0x0
	.size	__hip_cuid_30946dd0a0fa5260, 1

	.ident	"AMD clang version 19.0.0git (https://github.com/RadeonOpenCompute/llvm-project roc-6.4.0 25133 c7fe45cf4b819c5991fe208aaa96edf142730f1d)"
	.section	".note.GNU-stack","",@progbits
	.addrsig
	.addrsig_sym __hip_cuid_30946dd0a0fa5260
	.amdgpu_metadata
---
amdhsa.kernels:
  - .args:
      - .actual_access:  read_only
        .address_space:  global
        .offset:         0
        .size:           8
        .value_kind:     global_buffer
      - .offset:         8
        .size:           8
        .value_kind:     by_value
      - .actual_access:  read_only
        .address_space:  global
        .offset:         16
        .size:           8
        .value_kind:     global_buffer
      - .actual_access:  read_only
        .address_space:  global
        .offset:         24
        .size:           8
        .value_kind:     global_buffer
      - .offset:         32
        .size:           8
        .value_kind:     by_value
      - .actual_access:  read_only
        .address_space:  global
        .offset:         40
        .size:           8
        .value_kind:     global_buffer
      - .actual_access:  read_only
        .address_space:  global
        .offset:         48
        .size:           8
        .value_kind:     global_buffer
      - .offset:         56
        .size:           4
        .value_kind:     by_value
      - .actual_access:  read_only
        .address_space:  global
        .offset:         64
        .size:           8
        .value_kind:     global_buffer
      - .actual_access:  read_only
        .address_space:  global
        .offset:         72
        .size:           8
        .value_kind:     global_buffer
      - .address_space:  global
        .offset:         80
        .size:           8
        .value_kind:     global_buffer
    .group_segment_fixed_size: 0
    .kernarg_segment_align: 8
    .kernarg_segment_size: 88
    .language:       OpenCL C
    .language_version:
      - 2
      - 0
    .max_flat_workgroup_size: 99
    .name:           fft_rtc_back_len330_factors_11_10_3_wgs_99_tpt_33_dp_ip_CI_unitstride_sbrr_C2R_dirReg
    .private_segment_fixed_size: 0
    .sgpr_count:     34
    .sgpr_spill_count: 0
    .symbol:         fft_rtc_back_len330_factors_11_10_3_wgs_99_tpt_33_dp_ip_CI_unitstride_sbrr_C2R_dirReg.kd
    .uniform_work_group_size: 1
    .uses_dynamic_stack: false
    .vgpr_count:     192
    .vgpr_spill_count: 0
    .wavefront_size: 32
    .workgroup_processor_mode: 1
amdhsa.target:   amdgcn-amd-amdhsa--gfx1201
amdhsa.version:
  - 1
  - 2
...

	.end_amdgpu_metadata
